;; amdgpu-corpus repo=ROCm/rocFFT kind=compiled arch=gfx90a opt=O3
	.text
	.amdgcn_target "amdgcn-amd-amdhsa--gfx90a"
	.amdhsa_code_object_version 6
	.protected	bluestein_single_fwd_len80_dim1_dp_op_CI_CI ; -- Begin function bluestein_single_fwd_len80_dim1_dp_op_CI_CI
	.globl	bluestein_single_fwd_len80_dim1_dp_op_CI_CI
	.p2align	8
	.type	bluestein_single_fwd_len80_dim1_dp_op_CI_CI,@function
bluestein_single_fwd_len80_dim1_dp_op_CI_CI: ; @bluestein_single_fwd_len80_dim1_dp_op_CI_CI
; %bb.0:
	s_load_dwordx4 s[8:11], s[4:5], 0x28
	v_mul_u32_u24_e32 v1, 0x199a, v0
	v_lshrrev_b32_e32 v2, 16, v1
	v_mad_u64_u32 v[108:109], s[0:1], s6, 6, v[2:3]
	v_mov_b32_e32 v109, 0
	s_waitcnt lgkmcnt(0)
	v_cmp_gt_u64_e32 vcc, s[8:9], v[108:109]
	s_and_saveexec_b64 s[0:1], vcc
	s_cbranch_execz .LBB0_15
; %bb.1:
	s_load_dwordx4 s[0:3], s[4:5], 0x18
	v_mul_lo_u16_e32 v1, 10, v2
	v_sub_u16_e32 v106, v0, v1
	v_or_b32_e32 v110, 16, v106
	v_or_b32_e32 v109, 32, v106
	s_waitcnt lgkmcnt(0)
	s_load_dwordx4 s[12:15], s[0:1], 0x0
	s_load_dwordx2 s[16:17], s[4:5], 0x0
	v_lshlrev_b32_e32 v46, 4, v106
	v_or_b32_e32 v111, 48, v106
	v_or_b32_e32 v112, 64, v106
	s_waitcnt lgkmcnt(0)
	v_mad_u64_u32 v[0:1], s[0:1], s14, v108, 0
	v_mov_b32_e32 v4, v1
	v_mad_u64_u32 v[2:3], s[0:1], s12, v106, 0
	v_mad_u64_u32 v[4:5], s[0:1], s15, v108, v[4:5]
	v_mov_b32_e32 v6, v3
	v_mov_b32_e32 v1, v4
	v_mad_u64_u32 v[4:5], s[0:1], s13, v106, v[6:7]
	v_lshlrev_b64 v[0:1], 4, v[0:1]
	v_mov_b32_e32 v3, v4
	v_mov_b32_e32 v4, s11
	v_add_co_u32_e32 v20, vcc, s10, v0
	v_addc_co_u32_e32 v21, vcc, v4, v1, vcc
	v_lshlrev_b64 v[0:1], 4, v[2:3]
	v_add_co_u32_e32 v0, vcc, v20, v0
	v_addc_co_u32_e32 v1, vcc, v21, v1, vcc
	global_load_dwordx4 v[22:25], v[0:1], off
	v_mad_u64_u32 v[0:1], s[0:1], s12, v110, 0
	v_mov_b32_e32 v2, v1
	v_mad_u64_u32 v[2:3], s[0:1], s13, v110, v[2:3]
	v_mad_u64_u32 v[6:7], s[0:1], s12, v109, 0
	v_mov_b32_e32 v1, v2
	v_mov_b32_e32 v8, v7
	v_lshlrev_b64 v[0:1], 4, v[0:1]
	v_mad_u64_u32 v[8:9], s[0:1], s13, v109, v[8:9]
	v_add_co_u32_e32 v4, vcc, v20, v0
	v_mov_b32_e32 v7, v8
	v_addc_co_u32_e32 v5, vcc, v21, v1, vcc
	v_lshlrev_b64 v[6:7], 4, v[6:7]
	v_add_co_u32_e32 v6, vcc, v20, v6
	global_load_dwordx4 v[12:15], v46, s[16:17]
	global_load_dwordx4 v[0:3], v46, s[16:17] offset:256
	v_addc_co_u32_e32 v7, vcc, v21, v7, vcc
	global_load_dwordx4 v[26:29], v[4:5], off
	global_load_dwordx4 v[30:33], v[6:7], off
	v_mad_u64_u32 v[4:5], s[0:1], s12, v111, 0
	v_mov_b32_e32 v6, v5
	v_mad_u64_u32 v[6:7], s[0:1], s13, v111, v[6:7]
	v_mov_b32_e32 v5, v6
	v_lshlrev_b64 v[4:5], 4, v[4:5]
	v_add_co_u32_e32 v8, vcc, v20, v4
	v_addc_co_u32_e32 v9, vcc, v21, v5, vcc
	global_load_dwordx4 v[34:37], v[8:9], off
	global_load_dwordx4 v[16:19], v46, s[16:17] offset:512
	global_load_dwordx4 v[4:7], v46, s[16:17] offset:768
	v_mad_u64_u32 v[8:9], s[0:1], s12, v112, 0
	v_mov_b32_e32 v10, v9
	v_mad_u64_u32 v[10:11], s[0:1], s13, v112, v[10:11]
	v_mov_b32_e32 v9, v10
	v_lshlrev_b64 v[8:9], 4, v[8:9]
	v_add_co_u32_e32 v42, vcc, v20, v8
	v_addc_co_u32_e32 v43, vcc, v21, v9, vcc
	global_load_dwordx4 v[38:41], v[42:43], off
	global_load_dwordx4 v[8:11], v46, s[16:17] offset:1024
	s_mov_b32 s0, 0xaaaaaaab
	v_mul_hi_u32 v42, v108, s0
	v_lshrrev_b32_e32 v42, 2, v42
	v_mul_lo_u32 v42, v42, 6
	v_sub_u32_e32 v42, v108, v42
	v_mul_u32_u24_e32 v114, 0x50, v42
	v_mov_b32_e32 v42, s17
	v_add_co_u32_e32 v104, vcc, s16, v46
	v_addc_co_u32_e32 v105, vcc, 0, v42, vcc
	v_or_b32_e32 v44, v114, v106
	v_lshlrev_b32_e32 v113, 4, v44
	v_lshl_add_u32 v107, v114, 4, v46
	s_load_dwordx2 s[6:7], s[4:5], 0x38
	s_load_dwordx4 s[8:11], s[2:3], 0x0
	v_add_co_u32_e32 v60, vcc, 10, v106
	v_cmp_gt_u16_e32 vcc, 6, v106
	s_waitcnt vmcnt(8)
	v_mul_f64 v[42:43], v[24:25], v[14:15]
	v_fmac_f64_e32 v[42:43], v[22:23], v[12:13]
	v_mul_f64 v[22:23], v[22:23], v[14:15]
	v_fma_f64 v[44:45], v[24:25], v[12:13], -v[22:23]
	s_waitcnt vmcnt(6)
	v_mul_f64 v[22:23], v[28:29], v[2:3]
	v_mul_f64 v[24:25], v[26:27], v[2:3]
	v_fmac_f64_e32 v[22:23], v[26:27], v[0:1]
	v_fma_f64 v[24:25], v[28:29], v[0:1], -v[24:25]
	ds_write_b128 v113, v[42:45]
	ds_write_b128 v107, v[22:25] offset:256
	s_waitcnt vmcnt(3)
	v_mul_f64 v[22:23], v[32:33], v[18:19]
	v_mul_f64 v[24:25], v[30:31], v[18:19]
	v_fmac_f64_e32 v[22:23], v[30:31], v[16:17]
	v_fma_f64 v[24:25], v[32:33], v[16:17], -v[24:25]
	ds_write_b128 v107, v[22:25] offset:512
	s_waitcnt vmcnt(2)
	v_mul_f64 v[22:23], v[36:37], v[6:7]
	v_mul_f64 v[24:25], v[34:35], v[6:7]
	v_fmac_f64_e32 v[22:23], v[34:35], v[4:5]
	v_fma_f64 v[24:25], v[36:37], v[4:5], -v[24:25]
	;; [unrolled: 6-line block ×3, first 2 shown]
	ds_write_b128 v107, v[22:25] offset:1024
	s_and_saveexec_b64 s[2:3], vcc
	s_cbranch_execz .LBB0_3
; %bb.2:
	v_mad_u64_u32 v[22:23], s[0:1], s12, v60, 0
	v_mov_b32_e32 v24, v23
	v_mad_u64_u32 v[24:25], s[0:1], s13, v60, v[24:25]
	v_mov_b32_e32 v23, v24
	v_lshlrev_b64 v[22:23], 4, v[22:23]
	v_add_co_u32_e64 v36, s[0:1], v20, v22
	v_addc_co_u32_e64 v37, s[0:1], v21, v23, s[0:1]
	s_lshl_b64 s[12:13], s[12:13], 8
	v_mov_b32_e32 v54, s13
	v_add_co_u32_e64 v38, s[0:1], s12, v36
	v_addc_co_u32_e64 v39, s[0:1], v37, v54, s[0:1]
	v_add_co_u32_e64 v44, s[0:1], s12, v38
	v_addc_co_u32_e64 v45, s[0:1], v39, v54, s[0:1]
	global_load_dwordx4 v[20:23], v[36:37], off
	global_load_dwordx4 v[24:27], v[38:39], off
	global_load_dwordx4 v[28:31], v[104:105], off offset:160
	global_load_dwordx4 v[32:35], v[104:105], off offset:416
	v_add_co_u32_e64 v52, s[0:1], s12, v44
	global_load_dwordx4 v[36:39], v[44:45], off
	global_load_dwordx4 v[40:43], v[104:105], off offset:672
	v_addc_co_u32_e64 v53, s[0:1], v45, v54, s[0:1]
	v_add_co_u32_e64 v62, s[0:1], s12, v52
	global_load_dwordx4 v[44:47], v[52:53], off
	global_load_dwordx4 v[48:51], v[104:105], off offset:928
	v_addc_co_u32_e64 v63, s[0:1], v53, v54, s[0:1]
	global_load_dwordx4 v[52:55], v[104:105], off offset:1184
	global_load_dwordx4 v[56:59], v[62:63], off
	s_waitcnt vmcnt(7)
	v_mul_f64 v[62:63], v[22:23], v[30:31]
	v_mul_f64 v[30:31], v[20:21], v[30:31]
	v_fmac_f64_e32 v[62:63], v[20:21], v[28:29]
	v_fma_f64 v[64:65], v[22:23], v[28:29], -v[30:31]
	s_waitcnt vmcnt(6)
	v_mul_f64 v[20:21], v[26:27], v[34:35]
	v_mul_f64 v[22:23], v[24:25], v[34:35]
	v_fmac_f64_e32 v[20:21], v[24:25], v[32:33]
	v_fma_f64 v[22:23], v[26:27], v[32:33], -v[22:23]
	;; [unrolled: 5-line block ×3, first 2 shown]
	ds_write_b128 v107, v[20:23] offset:416
	s_waitcnt vmcnt(2)
	v_mul_f64 v[20:21], v[46:47], v[50:51]
	v_mul_f64 v[22:23], v[44:45], v[50:51]
	ds_write_b128 v107, v[24:27] offset:672
	s_waitcnt vmcnt(0)
	v_mul_f64 v[24:25], v[58:59], v[54:55]
	v_mul_f64 v[26:27], v[56:57], v[54:55]
	v_fmac_f64_e32 v[20:21], v[44:45], v[48:49]
	v_fma_f64 v[22:23], v[46:47], v[48:49], -v[22:23]
	v_fmac_f64_e32 v[24:25], v[56:57], v[52:53]
	v_fma_f64 v[26:27], v[58:59], v[52:53], -v[26:27]
	ds_write_b128 v107, v[62:65] offset:160
	ds_write_b128 v107, v[20:23] offset:928
	;; [unrolled: 1-line block ×3, first 2 shown]
.LBB0_3:
	s_or_b64 exec, exec, s[2:3]
	s_waitcnt lgkmcnt(0)
	; wave barrier
	s_waitcnt lgkmcnt(0)
	ds_read_b128 v[44:47], v113
	ds_read_b128 v[20:23], v107 offset:256
	ds_read_b128 v[24:27], v107 offset:512
	ds_read_b128 v[52:55], v107 offset:768
	ds_read_b128 v[56:59], v107 offset:1024
	s_load_dwordx2 s[2:3], s[4:5], 0x8
                                        ; implicit-def: $vgpr28_vgpr29
                                        ; implicit-def: $vgpr36_vgpr37
                                        ; implicit-def: $vgpr40_vgpr41
                                        ; implicit-def: $vgpr48_vgpr49
                                        ; implicit-def: $vgpr32_vgpr33
	s_and_saveexec_b64 s[0:1], vcc
	s_cbranch_execz .LBB0_5
; %bb.4:
	ds_read_b128 v[28:31], v107 offset:160
	ds_read_b128 v[32:35], v107 offset:416
	;; [unrolled: 1-line block ×5, first 2 shown]
.LBB0_5:
	s_or_b64 exec, exec, s[0:1]
	s_waitcnt lgkmcnt(0)
	v_add_f64 v[62:63], v[44:45], v[20:21]
	v_add_f64 v[62:63], v[62:63], v[24:25]
	v_add_f64 v[62:63], v[62:63], v[52:53]
	v_add_f64 v[78:79], v[62:63], v[56:57]
	v_add_f64 v[62:63], v[24:25], v[52:53]
	s_mov_b32 s0, 0x134454ff
	v_fma_f64 v[82:83], -0.5, v[62:63], v[44:45]
	v_add_f64 v[62:63], v[22:23], -v[58:59]
	s_mov_b32 s1, 0x3fee6f0e
	s_mov_b32 s4, 0x4755a5e
	;; [unrolled: 1-line block ×4, first 2 shown]
	v_fma_f64 v[86:87], s[0:1], v[62:63], v[82:83]
	v_add_f64 v[64:65], v[26:27], -v[54:55]
	s_mov_b32 s5, 0x3fe2cf23
	v_add_f64 v[66:67], v[20:21], -v[24:25]
	v_add_f64 v[68:69], v[56:57], -v[52:53]
	s_mov_b32 s12, 0x372fe950
	v_fmac_f64_e32 v[82:83], s[14:15], v[62:63]
	s_mov_b32 s19, 0xbfe2cf23
	s_mov_b32 s18, s4
	v_fmac_f64_e32 v[86:87], s[4:5], v[64:65]
	v_add_f64 v[66:67], v[66:67], v[68:69]
	s_mov_b32 s13, 0x3fd3c6ef
	v_fmac_f64_e32 v[82:83], s[18:19], v[64:65]
	v_fmac_f64_e32 v[86:87], s[12:13], v[66:67]
	;; [unrolled: 1-line block ×3, first 2 shown]
	v_add_f64 v[66:67], v[20:21], v[56:57]
	v_fmac_f64_e32 v[44:45], -0.5, v[66:67]
	v_fma_f64 v[90:91], s[14:15], v[64:65], v[44:45]
	v_fmac_f64_e32 v[44:45], s[0:1], v[64:65]
	v_fmac_f64_e32 v[90:91], s[4:5], v[62:63]
	v_fmac_f64_e32 v[44:45], s[18:19], v[62:63]
	v_add_f64 v[62:63], v[46:47], v[22:23]
	v_add_f64 v[62:63], v[62:63], v[26:27]
	;; [unrolled: 1-line block ×5, first 2 shown]
	v_add_f64 v[66:67], v[24:25], -v[20:21]
	v_fma_f64 v[84:85], -0.5, v[62:63], v[46:47]
	v_add_f64 v[20:21], v[20:21], -v[56:57]
	v_add_f64 v[68:69], v[52:53], -v[56:57]
	v_fma_f64 v[88:89], s[14:15], v[20:21], v[84:85]
	v_add_f64 v[24:25], v[24:25], -v[52:53]
	v_add_f64 v[52:53], v[22:23], -v[26:27]
	;; [unrolled: 1-line block ×3, first 2 shown]
	v_fmac_f64_e32 v[84:85], s[0:1], v[20:21]
	v_fmac_f64_e32 v[88:89], s[18:19], v[24:25]
	v_add_f64 v[52:53], v[52:53], v[56:57]
	v_fmac_f64_e32 v[84:85], s[4:5], v[24:25]
	v_fmac_f64_e32 v[88:89], s[12:13], v[52:53]
	;; [unrolled: 1-line block ×3, first 2 shown]
	v_add_f64 v[52:53], v[22:23], v[58:59]
	v_fmac_f64_e32 v[46:47], -0.5, v[52:53]
	v_fma_f64 v[92:93], s[0:1], v[24:25], v[46:47]
	v_add_f64 v[22:23], v[26:27], -v[22:23]
	v_add_f64 v[26:27], v[54:55], -v[58:59]
	v_fmac_f64_e32 v[46:47], s[14:15], v[24:25]
	v_fmac_f64_e32 v[92:93], s[18:19], v[20:21]
	v_add_f64 v[22:23], v[22:23], v[26:27]
	v_fmac_f64_e32 v[46:47], s[4:5], v[20:21]
	v_add_f64 v[20:21], v[36:37], v[40:41]
	v_fmac_f64_e32 v[92:93], s[12:13], v[22:23]
	v_fmac_f64_e32 v[46:47], s[12:13], v[22:23]
	v_fma_f64 v[52:53], -0.5, v[20:21], v[28:29]
	v_add_f64 v[20:21], v[32:33], -v[36:37]
	v_add_f64 v[22:23], v[48:49], -v[40:41]
	v_add_f64 v[62:63], v[22:23], v[20:21]
	v_add_f64 v[22:23], v[48:49], v[32:33]
	v_add_f64 v[66:67], v[66:67], v[68:69]
	v_fma_f64 v[54:55], -0.5, v[22:23], v[28:29]
	v_add_f64 v[22:23], v[36:37], -v[32:33]
	v_add_f64 v[24:25], v[40:41], -v[48:49]
	v_fmac_f64_e32 v[90:91], s[12:13], v[66:67]
	v_fmac_f64_e32 v[44:45], s[12:13], v[66:67]
	v_add_f64 v[66:67], v[24:25], v[22:23]
	v_add_f64 v[22:23], v[38:39], v[42:43]
	v_fma_f64 v[64:65], -0.5, v[22:23], v[30:31]
	v_add_f64 v[22:23], v[34:35], -v[38:39]
	v_add_f64 v[26:27], v[50:51], -v[42:43]
	v_add_f64 v[72:73], v[26:27], v[22:23]
	v_add_f64 v[26:27], v[50:51], v[34:35]
	v_add_f64 v[56:57], v[34:35], -v[50:51]
	v_add_f64 v[58:59], v[38:39], -v[42:43]
	;; [unrolled: 1-line block ×4, first 2 shown]
	v_fma_f64 v[74:75], -0.5, v[26:27], v[30:31]
	v_add_f64 v[26:27], v[38:39], -v[34:35]
	v_add_f64 v[76:77], v[42:43], -v[50:51]
	v_fma_f64 v[20:21], s[14:15], v[56:57], v[52:53]
	v_fma_f64 v[24:25], s[0:1], v[58:59], v[54:55]
	;; [unrolled: 1-line block ×3, first 2 shown]
	v_add_f64 v[76:77], v[76:77], v[26:27]
	v_fma_f64 v[26:27], s[14:15], v[70:71], v[74:75]
	v_fmac_f64_e32 v[20:21], s[18:19], v[58:59]
	v_fmac_f64_e32 v[24:25], s[18:19], v[56:57]
	v_fmac_f64_e32 v[22:23], s[4:5], v[70:71]
	v_fmac_f64_e32 v[26:27], s[4:5], v[68:69]
	v_mul_lo_u16_e32 v61, 5, v106
	v_fmac_f64_e32 v[20:21], s[12:13], v[62:63]
	v_fmac_f64_e32 v[24:25], s[12:13], v[66:67]
	;; [unrolled: 1-line block ×4, first 2 shown]
	v_add_lshl_u32 v116, v114, v61, 4
	v_mul_u32_u24_e32 v115, 5, v60
	s_waitcnt lgkmcnt(0)
	; wave barrier
	ds_write_b128 v116, v[78:81]
	ds_write_b128 v116, v[86:89] offset:16
	ds_write_b128 v116, v[90:93] offset:32
	;; [unrolled: 1-line block ×4, first 2 shown]
	s_and_saveexec_b64 s[14:15], vcc
	s_cbranch_execz .LBB0_7
; %bb.6:
	v_mul_f64 v[78:79], v[58:59], s[4:5]
	v_mul_f64 v[58:59], v[58:59], s[0:1]
	;; [unrolled: 1-line block ×3, first 2 shown]
	v_add_f64 v[30:31], v[30:31], v[34:35]
	v_add_f64 v[34:35], v[54:55], -v[58:59]
	v_add_f64 v[28:29], v[28:29], v[32:33]
	v_mul_f64 v[46:47], v[56:57], s[0:1]
	v_mul_f64 v[66:67], v[66:67], s[12:13]
	;; [unrolled: 1-line block ×4, first 2 shown]
	v_add_f64 v[30:31], v[38:39], v[30:31]
	v_add_f64 v[34:35], v[80:81], v[34:35]
	;; [unrolled: 1-line block ×3, first 2 shown]
	v_mul_f64 v[82:83], v[70:71], s[4:5]
	v_mul_f64 v[68:69], v[68:69], s[4:5]
	v_add_f64 v[44:45], v[44:45], v[74:75]
	v_add_f64 v[56:57], v[64:65], -v[56:57]
	v_add_f64 v[30:31], v[42:43], v[30:31]
	v_add_f64 v[42:43], v[66:67], v[34:35]
	;; [unrolled: 1-line block ×4, first 2 shown]
	v_mul_f64 v[62:63], v[62:63], s[12:13]
	v_mul_f64 v[72:73], v[72:73], s[12:13]
	;; [unrolled: 1-line block ×3, first 2 shown]
	v_add_f64 v[44:45], v[44:45], -v[68:69]
	v_add_f64 v[56:57], v[56:57], -v[82:83]
	v_add_f64 v[30:31], v[50:51], v[30:31]
	v_add_f64 v[34:35], v[78:79], v[34:35]
	;; [unrolled: 1-line block ×3, first 2 shown]
	v_add_lshl_u32 v32, v114, v115, 4
	v_add_f64 v[44:45], v[70:71], v[44:45]
	v_add_f64 v[56:57], v[72:73], v[56:57]
	;; [unrolled: 1-line block ×3, first 2 shown]
	ds_write_b128 v32, v[28:31]
	ds_write_b128 v32, v[54:57] offset:16
	ds_write_b128 v32, v[42:45] offset:32
	;; [unrolled: 1-line block ×4, first 2 shown]
.LBB0_7:
	s_or_b64 exec, exec, s[14:15]
	v_add_co_u32_e64 v28, s[0:1], -5, v106
	v_addc_co_u32_e64 v29, s[0:1], 0, -1, s[0:1]
	v_cmp_gt_u16_e64 s[0:1], 5, v106
	v_cndmask_b32_e64 v77, v29, 0, s[0:1]
	v_cndmask_b32_e64 v76, v28, v106, s[0:1]
	v_lshlrev_b64 v[28:29], 4, v[76:77]
	v_mov_b32_e32 v30, s3
	v_add_co_u32_e64 v36, s[0:1], s2, v28
	v_addc_co_u32_e64 v37, s[0:1], v30, v29, s[0:1]
	s_movk_i32 s0, 0xcd
	v_mul_lo_u16_sdwa v28, v60, s0 dst_sel:DWORD dst_unused:UNUSED_PAD src0_sel:BYTE_0 src1_sel:DWORD
	v_lshrrev_b16_e32 v77, 10, v28
	v_mul_lo_u16_e32 v28, 5, v77
	v_sub_u16_e32 v78, v60, v28
	v_mov_b32_e32 v38, 4
	s_waitcnt lgkmcnt(0)
	; wave barrier
	s_waitcnt lgkmcnt(0)
	v_lshlrev_b32_sdwa v39, v38, v78 dst_sel:DWORD dst_unused:UNUSED_PAD src0_sel:DWORD src1_sel:BYTE_0
	global_load_dwordx4 v[32:35], v[36:37], off
	global_load_dwordx4 v[28:31], v39, s[2:3]
	v_add_u16_e32 v36, 20, v106
	v_mul_lo_u16_sdwa v37, v36, s0 dst_sel:DWORD dst_unused:UNUSED_PAD src0_sel:BYTE_0 src1_sel:DWORD
	v_lshrrev_b16_e32 v90, 10, v37
	v_mul_lo_u16_e32 v37, 5, v90
	v_sub_u16_e32 v91, v36, v37
	v_add_u16_e32 v37, 30, v106
	v_mul_lo_u16_sdwa v39, v37, s0 dst_sel:DWORD dst_unused:UNUSED_PAD src0_sel:BYTE_0 src1_sel:DWORD
	v_lshrrev_b16_e32 v92, 10, v39
	v_mul_lo_u16_e32 v39, 5, v92
	v_lshlrev_b32_sdwa v36, v38, v91 dst_sel:DWORD dst_unused:UNUSED_PAD src0_sel:DWORD src1_sel:BYTE_0
	v_sub_u16_e32 v93, v37, v39
	global_load_dwordx4 v[40:43], v36, s[2:3]
	v_lshlrev_b32_sdwa v36, v38, v93 dst_sel:DWORD dst_unused:UNUSED_PAD src0_sel:DWORD src1_sel:BYTE_0
	global_load_dwordx4 v[36:39], v36, s[2:3]
	v_cmp_lt_u16_e64 s[0:1], 4, v106
	v_cndmask_b32_e64 v79, 0, 10, s[0:1]
	v_add_u32_e32 v76, v76, v79
	v_add_lshl_u32 v117, v114, v76, 4
	v_mad_legacy_u16 v76, v77, 10, v78
	v_and_b32_e32 v76, 0xff, v76
	ds_read_b128 v[44:47], v113
	ds_read_b128 v[48:51], v107 offset:160
	ds_read_b128 v[52:55], v107 offset:640
	;; [unrolled: 1-line block ×7, first 2 shown]
	v_add_lshl_u32 v118, v114, v76, 4
	s_waitcnt lgkmcnt(0)
	; wave barrier
	s_waitcnt lgkmcnt(0)
	s_movk_i32 s0, 0x70
	s_waitcnt vmcnt(3)
	v_mul_f64 v[76:77], v[54:55], v[34:35]
	v_mul_f64 v[78:79], v[52:53], v[34:35]
	v_fma_f64 v[52:53], v[52:53], v[32:33], -v[76:77]
	v_fmac_f64_e32 v[78:79], v[54:55], v[32:33]
	s_waitcnt vmcnt(2)
	v_mul_f64 v[76:77], v[58:59], v[30:31]
	v_mul_f64 v[80:81], v[56:57], v[30:31]
	v_add_f64 v[52:53], v[44:45], -v[52:53]
	v_add_f64 v[54:55], v[46:47], -v[78:79]
	v_fma_f64 v[56:57], v[56:57], v[28:29], -v[76:77]
	v_fmac_f64_e32 v[80:81], v[58:59], v[28:29]
	v_fma_f64 v[44:45], v[44:45], 2.0, -v[52:53]
	v_fma_f64 v[46:47], v[46:47], 2.0, -v[54:55]
	ds_write_b128 v117, v[52:55] offset:80
	v_add_f64 v[52:53], v[48:49], -v[56:57]
	v_add_f64 v[54:55], v[50:51], -v[80:81]
	ds_write_b128 v117, v[44:47]
	v_fma_f64 v[44:45], v[48:49], 2.0, -v[52:53]
	v_fma_f64 v[46:47], v[50:51], 2.0, -v[54:55]
	ds_write_b128 v118, v[52:55] offset:80
	ds_write_b128 v118, v[44:47]
	v_mad_legacy_u16 v44, v90, 10, v91
	v_and_b32_e32 v44, 0xff, v44
	s_waitcnt vmcnt(1)
	v_mul_f64 v[82:83], v[70:71], v[42:43]
	v_mul_f64 v[84:85], v[68:69], v[42:43]
	s_waitcnt vmcnt(0)
	v_mul_f64 v[86:87], v[74:75], v[38:39]
	v_mul_f64 v[88:89], v[72:73], v[38:39]
	v_add_lshl_u32 v119, v114, v44, 4
	v_mad_legacy_u16 v44, v92, 10, v93
	v_fma_f64 v[58:59], v[68:69], v[40:41], -v[82:83]
	v_fmac_f64_e32 v[84:85], v[70:71], v[40:41]
	v_fma_f64 v[68:69], v[72:73], v[36:37], -v[86:87]
	v_fmac_f64_e32 v[88:89], v[74:75], v[36:37]
	v_and_b32_e32 v44, 0xff, v44
	v_add_f64 v[56:57], v[60:61], -v[58:59]
	v_add_f64 v[58:59], v[62:63], -v[84:85]
	;; [unrolled: 1-line block ×4, first 2 shown]
	v_add_lshl_u32 v120, v114, v44, 4
	v_pk_mov_b32 v[44:45], s[2:3], s[2:3] op_sel:[0,1]
	v_fma_f64 v[48:49], v[60:61], 2.0, -v[56:57]
	v_fma_f64 v[50:51], v[62:63], 2.0, -v[58:59]
	;; [unrolled: 1-line block ×4, first 2 shown]
	v_mad_u64_u32 v[72:73], s[0:1], v106, s0, v[44:45]
	ds_write_b128 v119, v[48:51]
	ds_write_b128 v119, v[56:59] offset:80
	ds_write_b128 v120, v[60:63]
	ds_write_b128 v120, v[68:71] offset:80
	s_waitcnt lgkmcnt(0)
	; wave barrier
	s_waitcnt lgkmcnt(0)
	global_load_dwordx4 v[56:59], v[72:73], off offset:80
	global_load_dwordx4 v[52:55], v[72:73], off offset:96
	;; [unrolled: 1-line block ×7, first 2 shown]
	ds_read_b128 v[72:75], v113
	ds_read_b128 v[76:79], v107 offset:160
	ds_read_b128 v[80:83], v107 offset:320
	;; [unrolled: 1-line block ×7, first 2 shown]
	s_mov_b32 s0, 0x667f3bcd
	s_mov_b32 s1, 0xbfe6a09e
	;; [unrolled: 1-line block ×4, first 2 shown]
	s_waitcnt vmcnt(6) lgkmcnt(6)
	v_mul_f64 v[122:123], v[78:79], v[58:59]
	v_mul_f64 v[124:125], v[76:77], v[58:59]
	s_waitcnt vmcnt(5) lgkmcnt(5)
	v_mul_f64 v[126:127], v[82:83], v[54:55]
	v_mul_f64 v[128:129], v[80:81], v[54:55]
	s_waitcnt vmcnt(4) lgkmcnt(4)
	v_mul_f64 v[130:131], v[86:87], v[50:51]
	v_mul_f64 v[132:133], v[84:85], v[50:51]
	s_waitcnt vmcnt(3) lgkmcnt(3)
	v_mul_f64 v[134:135], v[90:91], v[46:47]
	v_mul_f64 v[136:137], v[88:89], v[46:47]
	s_waitcnt vmcnt(2) lgkmcnt(2)
	v_mul_f64 v[138:139], v[94:95], v[70:71]
	v_mul_f64 v[140:141], v[92:93], v[70:71]
	s_waitcnt vmcnt(1) lgkmcnt(1)
	v_mul_f64 v[142:143], v[98:99], v[66:67]
	v_mul_f64 v[144:145], v[96:97], v[66:67]
	s_waitcnt vmcnt(0) lgkmcnt(0)
	v_mul_f64 v[146:147], v[102:103], v[62:63]
	v_mul_f64 v[148:149], v[100:101], v[62:63]
	v_fma_f64 v[76:77], v[76:77], v[56:57], -v[122:123]
	v_fmac_f64_e32 v[124:125], v[78:79], v[56:57]
	v_fma_f64 v[78:79], v[80:81], v[52:53], -v[126:127]
	v_fmac_f64_e32 v[128:129], v[82:83], v[52:53]
	;; [unrolled: 2-line block ×7, first 2 shown]
	v_add_f64 v[82:83], v[72:73], -v[82:83]
	v_add_f64 v[90:91], v[74:75], -v[136:137]
	;; [unrolled: 1-line block ×8, first 2 shown]
	v_fma_f64 v[72:73], v[72:73], 2.0, -v[82:83]
	v_fma_f64 v[74:75], v[74:75], 2.0, -v[90:91]
	;; [unrolled: 1-line block ×8, first 2 shown]
	v_add_f64 v[126:127], v[72:73], -v[78:79]
	v_add_f64 v[98:99], v[74:75], -v[98:99]
	;; [unrolled: 1-line block ×5, first 2 shown]
	v_add_f64 v[124:125], v[90:91], v[86:87]
	v_fma_f64 v[72:73], v[72:73], 2.0, -v[126:127]
	v_fma_f64 v[74:75], v[74:75], 2.0, -v[98:99]
	;; [unrolled: 1-line block ×4, first 2 shown]
	v_add_f64 v[100:101], v[84:85], -v[96:97]
	v_add_f64 v[128:129], v[94:95], v[88:89]
	v_fma_f64 v[78:79], v[82:83], 2.0, -v[122:123]
	v_fma_f64 v[82:83], v[90:91], 2.0, -v[124:125]
	;; [unrolled: 1-line block ×4, first 2 shown]
	v_add_f64 v[84:85], v[72:73], -v[76:77]
	v_add_f64 v[86:87], v[74:75], -v[86:87]
	v_fma_f64 v[88:89], v[72:73], 2.0, -v[84:85]
	v_fma_f64 v[90:91], v[74:75], 2.0, -v[86:87]
	v_fma_f64 v[72:73], s[0:1], v[92:93], v[78:79]
	v_fma_f64 v[74:75], s[0:1], v[94:95], v[82:83]
	v_fmac_f64_e32 v[72:73], s[0:1], v[94:95]
	v_fmac_f64_e32 v[74:75], s[2:3], v[92:93]
	v_fma_f64 v[92:93], v[78:79], 2.0, -v[72:73]
	v_fma_f64 v[94:95], v[82:83], 2.0, -v[74:75]
	v_add_f64 v[78:79], v[98:99], v[80:81]
	v_fma_f64 v[80:81], s[2:3], v[100:101], v[122:123]
	v_fma_f64 v[82:83], s[2:3], v[128:129], v[124:125]
	v_add_f64 v[76:77], v[126:127], -v[102:103]
	v_fmac_f64_e32 v[80:81], s[0:1], v[128:129]
	v_fmac_f64_e32 v[82:83], s[2:3], v[100:101]
	v_fma_f64 v[96:97], v[126:127], 2.0, -v[76:77]
	v_fma_f64 v[98:99], v[98:99], 2.0, -v[78:79]
	;; [unrolled: 1-line block ×4, first 2 shown]
	ds_write_b128 v113, v[88:91]
	ds_write_b128 v107, v[92:95] offset:160
	ds_write_b128 v107, v[96:99] offset:320
	;; [unrolled: 1-line block ×7, first 2 shown]
	s_waitcnt lgkmcnt(0)
	; wave barrier
	s_waitcnt lgkmcnt(0)
	global_load_dwordx4 v[86:89], v[104:105], off offset:1280
	s_add_u32 s0, s16, 0x500
	s_addc_u32 s1, s17, 0
	v_lshlrev_b32_e32 v84, 4, v106
	global_load_dwordx4 v[90:93], v84, s[0:1] offset:256
	global_load_dwordx4 v[94:97], v84, s[0:1] offset:512
	;; [unrolled: 1-line block ×4, first 2 shown]
	ds_read_b128 v[126:129], v113
	s_waitcnt vmcnt(4) lgkmcnt(0)
	v_mul_f64 v[102:103], v[128:129], v[88:89]
	v_mul_f64 v[132:133], v[126:127], v[88:89]
	v_fma_f64 v[130:131], v[126:127], v[86:87], -v[102:103]
	v_fmac_f64_e32 v[132:133], v[128:129], v[86:87]
	ds_write_b128 v113, v[130:133]
	ds_read_b128 v[86:89], v107 offset:256
	ds_read_b128 v[126:129], v107 offset:512
	;; [unrolled: 1-line block ×4, first 2 shown]
	s_waitcnt vmcnt(3) lgkmcnt(3)
	v_mul_f64 v[138:139], v[88:89], v[92:93]
	v_mul_f64 v[102:103], v[86:87], v[92:93]
	s_waitcnt vmcnt(2) lgkmcnt(2)
	v_mul_f64 v[142:143], v[128:129], v[96:97]
	v_mul_f64 v[92:93], v[126:127], v[96:97]
	;; [unrolled: 3-line block ×4, first 2 shown]
	v_fma_f64 v[100:101], v[86:87], v[90:91], -v[138:139]
	v_fmac_f64_e32 v[102:103], v[88:89], v[90:91]
	v_fma_f64 v[90:91], v[126:127], v[94:95], -v[142:143]
	v_fmac_f64_e32 v[92:93], v[128:129], v[94:95]
	;; [unrolled: 2-line block ×4, first 2 shown]
	ds_write_b128 v107, v[100:103] offset:256
	ds_write_b128 v107, v[90:93] offset:512
	;; [unrolled: 1-line block ×4, first 2 shown]
	s_and_saveexec_b64 s[2:3], vcc
	s_cbranch_execz .LBB0_9
; %bb.8:
	v_mov_b32_e32 v85, s1
	v_add_co_u32_e64 v122, s[0:1], s0, v84
	v_addc_co_u32_e64 v123, s[0:1], 0, v85, s[0:1]
	global_load_dwordx4 v[84:87], v[122:123], off offset:160
	global_load_dwordx4 v[88:91], v[122:123], off offset:416
	;; [unrolled: 1-line block ×5, first 2 shown]
	ds_read_b128 v[122:125], v107 offset:160
	ds_read_b128 v[126:129], v107 offset:416
	;; [unrolled: 1-line block ×5, first 2 shown]
	s_waitcnt vmcnt(4) lgkmcnt(4)
	v_mul_f64 v[142:143], v[124:125], v[86:87]
	v_mul_f64 v[144:145], v[122:123], v[86:87]
	s_waitcnt vmcnt(3) lgkmcnt(3)
	v_mul_f64 v[146:147], v[128:129], v[90:91]
	v_mul_f64 v[86:87], v[126:127], v[90:91]
	;; [unrolled: 3-line block ×5, first 2 shown]
	v_fma_f64 v[142:143], v[122:123], v[84:85], -v[142:143]
	v_fmac_f64_e32 v[144:145], v[124:125], v[84:85]
	v_fma_f64 v[84:85], v[126:127], v[88:89], -v[146:147]
	v_fmac_f64_e32 v[86:87], v[128:129], v[88:89]
	;; [unrolled: 2-line block ×5, first 2 shown]
	ds_write_b128 v107, v[142:145] offset:160
	ds_write_b128 v107, v[84:87] offset:416
	;; [unrolled: 1-line block ×5, first 2 shown]
.LBB0_9:
	s_or_b64 exec, exec, s[2:3]
	s_waitcnt lgkmcnt(0)
	; wave barrier
	s_waitcnt lgkmcnt(0)
	ds_read_b128 v[84:87], v113
	ds_read_b128 v[88:91], v107 offset:256
	ds_read_b128 v[92:95], v107 offset:512
	;; [unrolled: 1-line block ×4, first 2 shown]
	s_and_saveexec_b64 s[0:1], vcc
	s_cbranch_execz .LBB0_11
; %bb.10:
	v_lshlrev_b32_e32 v20, 4, v114
	v_lshl_add_u32 v20, v106, 4, v20
	ds_read_b128 v[72:75], v107 offset:160
	ds_read_b128 v[76:79], v20 offset:416
	;; [unrolled: 1-line block ×5, first 2 shown]
.LBB0_11:
	s_or_b64 exec, exec, s[0:1]
	s_waitcnt lgkmcnt(1)
	v_add_f64 v[124:125], v[92:93], v[96:97]
	s_mov_b32 s0, 0x134454ff
	v_fma_f64 v[126:127], -0.5, v[124:125], v[84:85]
	s_waitcnt lgkmcnt(0)
	v_add_f64 v[124:125], v[90:91], -v[102:103]
	s_mov_b32 s1, 0xbfee6f0e
	s_mov_b32 s2, 0x4755a5e
	;; [unrolled: 1-line block ×4, first 2 shown]
	v_fma_f64 v[130:131], s[0:1], v[124:125], v[126:127]
	v_add_f64 v[128:129], v[94:95], -v[98:99]
	s_mov_b32 s3, 0xbfe2cf23
	v_add_f64 v[132:133], v[88:89], -v[92:93]
	v_add_f64 v[134:135], v[100:101], -v[96:97]
	s_mov_b32 s4, 0x372fe950
	v_fmac_f64_e32 v[126:127], s[12:13], v[124:125]
	s_mov_b32 s15, 0x3fe2cf23
	s_mov_b32 s14, s2
	v_fmac_f64_e32 v[130:131], s[2:3], v[128:129]
	v_add_f64 v[132:133], v[132:133], v[134:135]
	s_mov_b32 s5, 0x3fd3c6ef
	v_fmac_f64_e32 v[126:127], s[14:15], v[128:129]
	v_fmac_f64_e32 v[130:131], s[4:5], v[132:133]
	;; [unrolled: 1-line block ×3, first 2 shown]
	v_add_f64 v[132:133], v[88:89], v[100:101]
	v_add_f64 v[122:123], v[84:85], v[88:89]
	v_fmac_f64_e32 v[84:85], -0.5, v[132:133]
	v_add_f64 v[122:123], v[122:123], v[92:93]
	v_fma_f64 v[134:135], s[12:13], v[128:129], v[84:85]
	v_add_f64 v[132:133], v[92:93], -v[88:89]
	v_add_f64 v[136:137], v[96:97], -v[100:101]
	v_fmac_f64_e32 v[84:85], s[0:1], v[128:129]
	v_add_f64 v[128:129], v[94:95], v[98:99]
	v_add_f64 v[122:123], v[122:123], v[96:97]
	v_fmac_f64_e32 v[134:135], s[2:3], v[124:125]
	v_add_f64 v[132:133], v[132:133], v[136:137]
	v_fmac_f64_e32 v[84:85], s[14:15], v[124:125]
	v_fma_f64 v[128:129], -0.5, v[128:129], v[86:87]
	v_add_f64 v[88:89], v[88:89], -v[100:101]
	v_add_f64 v[122:123], v[122:123], v[100:101]
	v_fmac_f64_e32 v[134:135], s[4:5], v[132:133]
	v_fmac_f64_e32 v[84:85], s[4:5], v[132:133]
	v_fma_f64 v[132:133], s[12:13], v[88:89], v[128:129]
	v_add_f64 v[92:93], v[92:93], -v[96:97]
	v_add_f64 v[96:97], v[90:91], -v[94:95]
	;; [unrolled: 1-line block ×3, first 2 shown]
	v_fmac_f64_e32 v[128:129], s[0:1], v[88:89]
	v_fmac_f64_e32 v[132:133], s[14:15], v[92:93]
	v_add_f64 v[96:97], v[96:97], v[100:101]
	v_fmac_f64_e32 v[128:129], s[2:3], v[92:93]
	v_add_f64 v[124:125], v[86:87], v[90:91]
	v_fmac_f64_e32 v[132:133], s[4:5], v[96:97]
	v_fmac_f64_e32 v[128:129], s[4:5], v[96:97]
	v_add_f64 v[96:97], v[90:91], v[102:103]
	v_add_f64 v[124:125], v[124:125], v[94:95]
	v_fmac_f64_e32 v[86:87], -0.5, v[96:97]
	v_add_f64 v[124:125], v[124:125], v[98:99]
	v_fma_f64 v[136:137], s[0:1], v[92:93], v[86:87]
	v_add_f64 v[90:91], v[94:95], -v[90:91]
	v_add_f64 v[94:95], v[98:99], -v[102:103]
	v_fmac_f64_e32 v[86:87], s[12:13], v[92:93]
	v_add_f64 v[124:125], v[124:125], v[102:103]
	v_fmac_f64_e32 v[136:137], s[14:15], v[88:89]
	v_add_f64 v[90:91], v[90:91], v[94:95]
	v_fmac_f64_e32 v[86:87], s[2:3], v[88:89]
	v_fmac_f64_e32 v[136:137], s[4:5], v[90:91]
	;; [unrolled: 1-line block ×3, first 2 shown]
	s_waitcnt lgkmcnt(0)
	; wave barrier
	ds_write_b128 v116, v[122:125]
	ds_write_b128 v116, v[130:133] offset:16
	ds_write_b128 v116, v[134:137] offset:32
	;; [unrolled: 1-line block ×4, first 2 shown]
	s_and_saveexec_b64 s[16:17], vcc
	s_cbranch_execz .LBB0_13
; %bb.12:
	v_add_f64 v[84:85], v[82:83], -v[78:79]
	v_add_f64 v[86:87], v[26:27], -v[22:23]
	v_add_f64 v[84:85], v[86:87], v[84:85]
	v_add_f64 v[86:87], v[22:23], v[78:79]
	v_add_f64 v[88:89], v[80:81], -v[24:25]
	v_fma_f64 v[86:87], -0.5, v[86:87], v[74:75]
	v_fma_f64 v[90:91], s[12:13], v[88:89], v[86:87]
	v_add_f64 v[92:93], v[76:77], -v[20:21]
	v_fmac_f64_e32 v[86:87], s[0:1], v[88:89]
	v_fmac_f64_e32 v[90:91], s[2:3], v[92:93]
	;; [unrolled: 1-line block ×5, first 2 shown]
	v_add_f64 v[84:85], v[78:79], -v[82:83]
	v_add_f64 v[94:95], v[22:23], -v[26:27]
	v_add_f64 v[84:85], v[94:95], v[84:85]
	v_add_f64 v[94:95], v[82:83], v[26:27]
	v_fma_f64 v[94:95], -0.5, v[94:95], v[74:75]
	v_add_f64 v[74:75], v[74:75], v[78:79]
	v_fma_f64 v[98:99], s[0:1], v[92:93], v[94:95]
	v_fmac_f64_e32 v[94:95], s[12:13], v[92:93]
	v_add_f64 v[74:75], v[82:83], v[74:75]
	v_fmac_f64_e32 v[98:99], s[2:3], v[88:89]
	v_fmac_f64_e32 v[94:95], s[14:15], v[88:89]
	v_add_f64 v[74:75], v[26:27], v[74:75]
	v_fmac_f64_e32 v[98:99], s[4:5], v[84:85]
	v_fmac_f64_e32 v[94:95], s[4:5], v[84:85]
	v_add_f64 v[74:75], v[22:23], v[74:75]
	v_add_f64 v[84:85], v[80:81], -v[76:77]
	v_add_f64 v[88:89], v[24:25], -v[20:21]
	;; [unrolled: 1-line block ×3, first 2 shown]
	v_add_f64 v[78:79], v[20:21], v[76:77]
	v_add_f64 v[92:93], v[88:89], v[84:85]
	v_fma_f64 v[84:85], -0.5, v[78:79], v[72:73]
	v_add_f64 v[26:27], v[82:83], -v[26:27]
	v_fma_f64 v[88:89], s[0:1], v[26:27], v[84:85]
	v_fmac_f64_e32 v[84:85], s[12:13], v[26:27]
	v_add_f64 v[78:79], v[76:77], -v[80:81]
	v_add_f64 v[82:83], v[20:21], -v[24:25]
	v_fmac_f64_e32 v[88:89], s[14:15], v[22:23]
	v_fmac_f64_e32 v[84:85], s[2:3], v[22:23]
	v_add_f64 v[78:79], v[82:83], v[78:79]
	v_add_f64 v[82:83], v[80:81], v[24:25]
	v_fmac_f64_e32 v[88:89], s[4:5], v[92:93]
	v_fmac_f64_e32 v[84:85], s[4:5], v[92:93]
	v_fma_f64 v[92:93], -0.5, v[82:83], v[72:73]
	v_fma_f64 v[96:97], s[12:13], v[22:23], v[92:93]
	v_fmac_f64_e32 v[92:93], s[0:1], v[22:23]
	v_add_f64 v[22:23], v[72:73], v[76:77]
	v_add_f64 v[22:23], v[80:81], v[22:23]
	;; [unrolled: 1-line block ×3, first 2 shown]
	v_fmac_f64_e32 v[96:97], s[14:15], v[26:27]
	v_fmac_f64_e32 v[92:93], s[2:3], v[26:27]
	v_add_f64 v[72:73], v[20:21], v[22:23]
	v_add_lshl_u32 v20, v114, v115, 4
	v_fmac_f64_e32 v[96:97], s[4:5], v[78:79]
	v_fmac_f64_e32 v[92:93], s[4:5], v[78:79]
	ds_write_b128 v20, v[72:75]
	ds_write_b128 v20, v[92:95] offset:16
	ds_write_b128 v20, v[84:87] offset:32
	;; [unrolled: 1-line block ×4, first 2 shown]
.LBB0_13:
	s_or_b64 exec, exec, s[16:17]
	s_waitcnt lgkmcnt(0)
	; wave barrier
	s_waitcnt lgkmcnt(0)
	ds_read_b128 v[24:27], v113
	ds_read_b128 v[72:75], v107 offset:160
	ds_read_b128 v[76:79], v107 offset:640
	;; [unrolled: 1-line block ×7, first 2 shown]
	s_waitcnt lgkmcnt(5)
	v_mul_f64 v[100:101], v[34:35], v[78:79]
	v_mul_f64 v[34:35], v[34:35], v[76:77]
	v_fmac_f64_e32 v[100:101], v[32:33], v[76:77]
	v_fma_f64 v[32:33], v[32:33], v[78:79], -v[34:35]
	s_waitcnt lgkmcnt(4)
	v_mul_f64 v[34:35], v[30:31], v[82:83]
	v_mul_f64 v[30:31], v[30:31], v[80:81]
	v_fmac_f64_e32 v[34:35], v[28:29], v[80:81]
	v_fma_f64 v[76:77], v[28:29], v[82:83], -v[30:31]
	s_waitcnt lgkmcnt(1)
	v_mul_f64 v[28:29], v[42:43], v[92:93]
	v_mul_f64 v[78:79], v[42:43], v[94:95]
	v_fma_f64 v[42:43], v[40:41], v[94:95], -v[28:29]
	s_waitcnt lgkmcnt(0)
	v_mul_f64 v[80:81], v[38:39], v[98:99]
	v_mul_f64 v[28:29], v[38:39], v[96:97]
	v_fmac_f64_e32 v[78:79], v[40:41], v[92:93]
	v_fmac_f64_e32 v[80:81], v[36:37], v[96:97]
	v_fma_f64 v[82:83], v[36:37], v[98:99], -v[28:29]
	v_add_f64 v[28:29], v[24:25], -v[100:101]
	v_add_f64 v[30:31], v[26:27], -v[32:33]
	;; [unrolled: 1-line block ×8, first 2 shown]
	v_fma_f64 v[24:25], v[24:25], 2.0, -v[28:29]
	v_fma_f64 v[26:27], v[26:27], 2.0, -v[30:31]
	;; [unrolled: 1-line block ×8, first 2 shown]
	s_waitcnt lgkmcnt(0)
	; wave barrier
	ds_write_b128 v117, v[24:27]
	ds_write_b128 v117, v[28:31] offset:80
	ds_write_b128 v118, v[36:39]
	ds_write_b128 v118, v[32:35] offset:80
	;; [unrolled: 2-line block ×4, first 2 shown]
	s_waitcnt lgkmcnt(0)
	; wave barrier
	s_waitcnt lgkmcnt(0)
	ds_read_b128 v[24:27], v113
	ds_read_b128 v[28:31], v107 offset:160
	ds_read_b128 v[32:35], v107 offset:320
	;; [unrolled: 1-line block ×7, first 2 shown]
	s_waitcnt lgkmcnt(6)
	v_mul_f64 v[84:85], v[58:59], v[30:31]
	v_fmac_f64_e32 v[84:85], v[56:57], v[28:29]
	v_mul_f64 v[28:29], v[58:59], v[28:29]
	v_fma_f64 v[28:29], v[56:57], v[30:31], -v[28:29]
	s_waitcnt lgkmcnt(5)
	v_mul_f64 v[30:31], v[54:55], v[34:35]
	v_fmac_f64_e32 v[30:31], v[52:53], v[32:33]
	v_mul_f64 v[32:33], v[54:55], v[32:33]
	v_fma_f64 v[32:33], v[52:53], v[34:35], -v[32:33]
	;; [unrolled: 5-line block ×4, first 2 shown]
	s_waitcnt lgkmcnt(2)
	v_mul_f64 v[42:43], v[70:71], v[74:75]
	v_mul_f64 v[44:45], v[70:71], v[72:73]
	s_waitcnt lgkmcnt(1)
	v_mul_f64 v[46:47], v[66:67], v[78:79]
	v_mul_f64 v[48:49], v[66:67], v[76:77]
	;; [unrolled: 3-line block ×3, first 2 shown]
	v_fmac_f64_e32 v[42:43], v[68:69], v[72:73]
	v_fma_f64 v[44:45], v[68:69], v[74:75], -v[44:45]
	v_fmac_f64_e32 v[46:47], v[64:65], v[76:77]
	v_fma_f64 v[48:49], v[64:65], v[78:79], -v[48:49]
	;; [unrolled: 2-line block ×3, first 2 shown]
	v_add_f64 v[38:39], v[24:25], -v[38:39]
	v_add_f64 v[40:41], v[26:27], -v[40:41]
	;; [unrolled: 1-line block ×8, first 2 shown]
	v_fma_f64 v[24:25], v[24:25], 2.0, -v[38:39]
	v_fma_f64 v[26:27], v[26:27], 2.0, -v[40:41]
	;; [unrolled: 1-line block ×8, first 2 shown]
	v_mad_u64_u32 v[20:21], s[0:1], s10, v108, 0
	v_add_f64 v[56:57], v[24:25], -v[30:31]
	v_add_f64 v[58:59], v[26:27], -v[32:33]
	v_add_f64 v[60:61], v[38:39], v[48:49]
	v_add_f64 v[62:63], v[40:41], -v[46:47]
	v_add_f64 v[46:47], v[54:55], -v[34:35]
	;; [unrolled: 1-line block ×3, first 2 shown]
	v_fma_f64 v[30:31], v[24:25], 2.0, -v[56:57]
	v_fma_f64 v[32:33], v[26:27], 2.0, -v[58:59]
	;; [unrolled: 1-line block ×4, first 2 shown]
	v_add_f64 v[52:53], v[42:43], v[52:53]
	v_add_f64 v[54:55], v[44:45], -v[50:51]
	s_mov_b32 s0, 0x667f3bcd
	v_fma_f64 v[38:39], v[38:39], 2.0, -v[60:61]
	v_fma_f64 v[40:41], v[40:41], 2.0, -v[62:63]
	;; [unrolled: 1-line block ×4, first 2 shown]
	v_add_f64 v[24:25], v[30:31], -v[24:25]
	v_add_f64 v[26:27], v[32:33], -v[26:27]
	s_mov_b32 s1, 0xbfe6a09e
	v_fma_f64 v[28:29], v[30:31], 2.0, -v[24:25]
	v_fma_f64 v[30:31], v[32:33], 2.0, -v[26:27]
	v_fma_f64 v[32:33], s[0:1], v[36:37], v[38:39]
	v_fma_f64 v[34:35], s[0:1], v[42:43], v[40:41]
	s_mov_b32 s3, 0x3fe6a09e
	s_mov_b32 s2, s0
	v_fmac_f64_e32 v[32:33], s[2:3], v[42:43]
	v_fmac_f64_e32 v[34:35], s[0:1], v[36:37]
	v_fma_f64 v[36:37], v[38:39], 2.0, -v[32:33]
	v_fma_f64 v[38:39], v[40:41], 2.0, -v[34:35]
	v_add_f64 v[40:41], v[56:57], v[48:49]
	v_fma_f64 v[48:49], s[2:3], v[52:53], v[60:61]
	v_fma_f64 v[50:51], s[2:3], v[54:55], v[62:63]
	v_add_f64 v[42:43], v[58:59], -v[46:47]
	v_fmac_f64_e32 v[48:49], s[2:3], v[54:55]
	v_fmac_f64_e32 v[50:51], s[0:1], v[52:53]
	v_fma_f64 v[44:45], v[56:57], 2.0, -v[40:41]
	v_fma_f64 v[46:47], v[58:59], 2.0, -v[42:43]
	;; [unrolled: 1-line block ×4, first 2 shown]
	ds_write_b128 v113, v[28:31]
	ds_write_b128 v107, v[36:39] offset:160
	ds_write_b128 v107, v[44:47] offset:320
	;; [unrolled: 1-line block ×7, first 2 shown]
	s_waitcnt lgkmcnt(0)
	; wave barrier
	s_waitcnt lgkmcnt(0)
	ds_read_b128 v[24:27], v113
	ds_read_b128 v[28:31], v107 offset:256
	v_mov_b32_e32 v22, v21
	v_mad_u64_u32 v[22:23], s[0:1], s11, v108, v[22:23]
	v_mov_b32_e32 v21, v22
	s_waitcnt lgkmcnt(1)
	v_mul_f64 v[22:23], v[14:15], v[26:27]
	s_mov_b32 s2, 0x9999999a
	v_mul_f64 v[14:15], v[14:15], v[24:25]
	v_fmac_f64_e32 v[22:23], v[12:13], v[24:25]
	s_mov_b32 s3, 0x3f899999
	v_fma_f64 v[12:13], v[12:13], v[26:27], -v[14:15]
	v_mul_f64 v[24:25], v[12:13], s[2:3]
	v_mad_u64_u32 v[12:13], s[0:1], s8, v106, 0
	v_mov_b32_e32 v14, v13
	v_mad_u64_u32 v[14:15], s[0:1], s9, v106, v[14:15]
	v_mov_b32_e32 v13, v14
	v_lshlrev_b64 v[14:15], 4, v[20:21]
	v_mov_b32_e32 v20, s7
	v_add_co_u32_e64 v26, s[0:1], s6, v14
	v_addc_co_u32_e64 v27, s[0:1], v20, v15, s[0:1]
	v_lshlrev_b64 v[12:13], 4, v[12:13]
	v_add_co_u32_e64 v12, s[0:1], v26, v12
	s_waitcnt lgkmcnt(0)
	v_mul_f64 v[14:15], v[2:3], v[30:31]
	v_mul_f64 v[2:3], v[2:3], v[28:29]
	;; [unrolled: 1-line block ×3, first 2 shown]
	v_addc_co_u32_e64 v13, s[0:1], v27, v13, s[0:1]
	v_fmac_f64_e32 v[14:15], v[0:1], v[28:29]
	v_fma_f64 v[0:1], v[0:1], v[30:31], -v[2:3]
	global_store_dwordx4 v[12:13], v[22:25], off
	v_mul_f64 v[20:21], v[14:15], s[2:3]
	v_mul_f64 v[22:23], v[0:1], s[2:3]
	v_mad_u64_u32 v[0:1], s[0:1], s8, v110, 0
	v_mov_b32_e32 v2, v1
	v_mad_u64_u32 v[2:3], s[0:1], s9, v110, v[2:3]
	v_mov_b32_e32 v1, v2
	v_lshlrev_b64 v[14:15], 4, v[0:1]
	ds_read_b128 v[0:3], v107 offset:512
	v_add_co_u32_e64 v14, s[0:1], v26, v14
	v_addc_co_u32_e64 v15, s[0:1], v27, v15, s[0:1]
	global_store_dwordx4 v[14:15], v[20:23], off
	ds_read_b128 v[20:23], v107 offset:768
	s_waitcnt lgkmcnt(1)
	v_mul_f64 v[14:15], v[18:19], v[2:3]
	v_fmac_f64_e32 v[14:15], v[16:17], v[0:1]
	v_mul_f64 v[0:1], v[18:19], v[0:1]
	v_fma_f64 v[0:1], v[16:17], v[2:3], -v[0:1]
	v_mul_f64 v[16:17], v[0:1], s[2:3]
	v_mad_u64_u32 v[0:1], s[0:1], s8, v109, 0
	v_mov_b32_e32 v2, v1
	v_mad_u64_u32 v[2:3], s[0:1], s9, v109, v[2:3]
	v_mov_b32_e32 v1, v2
	v_lshlrev_b64 v[0:1], 4, v[0:1]
	v_add_co_u32_e64 v0, s[0:1], v26, v0
	v_mul_f64 v[14:15], v[14:15], s[2:3]
	v_addc_co_u32_e64 v1, s[0:1], v27, v1, s[0:1]
	global_store_dwordx4 v[0:1], v[14:17], off
	s_waitcnt lgkmcnt(0)
	v_mul_f64 v[0:1], v[6:7], v[22:23]
	v_mul_f64 v[2:3], v[6:7], v[20:21]
	v_fmac_f64_e32 v[0:1], v[4:5], v[20:21]
	v_fma_f64 v[2:3], v[4:5], v[22:23], -v[2:3]
	v_mad_u64_u32 v[4:5], s[0:1], s8, v111, 0
	v_mov_b32_e32 v6, v5
	v_mad_u64_u32 v[6:7], s[0:1], s9, v111, v[6:7]
	v_mov_b32_e32 v5, v6
	v_lshlrev_b64 v[14:15], 4, v[4:5]
	ds_read_b128 v[4:7], v107 offset:1024
	v_add_co_u32_e64 v14, s[0:1], v26, v14
	v_mul_f64 v[0:1], v[0:1], s[2:3]
	v_mul_f64 v[2:3], v[2:3], s[2:3]
	v_addc_co_u32_e64 v15, s[0:1], v27, v15, s[0:1]
	global_store_dwordx4 v[14:15], v[0:3], off
	s_waitcnt lgkmcnt(0)
	v_mul_f64 v[0:1], v[10:11], v[6:7]
	v_fmac_f64_e32 v[0:1], v[8:9], v[4:5]
	v_mul_f64 v[2:3], v[10:11], v[4:5]
	v_mad_u64_u32 v[4:5], s[0:1], s8, v112, 0
	v_fma_f64 v[2:3], v[8:9], v[6:7], -v[2:3]
	v_mov_b32_e32 v6, v5
	v_mad_u64_u32 v[6:7], s[0:1], s9, v112, v[6:7]
	v_mov_b32_e32 v5, v6
	v_lshlrev_b64 v[4:5], 4, v[4:5]
	v_add_co_u32_e64 v4, s[0:1], v26, v4
	v_mul_f64 v[0:1], v[0:1], s[2:3]
	v_mul_f64 v[2:3], v[2:3], s[2:3]
	v_addc_co_u32_e64 v5, s[0:1], v27, v5, s[0:1]
	global_store_dwordx4 v[4:5], v[0:3], off
	s_and_b64 exec, exec, vcc
	s_cbranch_execz .LBB0_15
; %bb.14:
	global_load_dwordx4 v[0:3], v[104:105], off offset:160
	global_load_dwordx4 v[4:7], v[104:105], off offset:416
	;; [unrolled: 1-line block ×5, first 2 shown]
	v_mov_b32_e32 v42, 0xa0
	s_mul_i32 s6, s9, 0xa0
	s_lshl_b64 s[0:1], s[8:9], 8
	v_mad_u64_u32 v[42:43], s[4:5], s8, v42, v[12:13]
	v_mov_b32_e32 v12, s1
	v_add_u32_e32 v43, s6, v43
	v_add_co_u32_e32 v44, vcc, s0, v42
	v_addc_co_u32_e32 v45, vcc, v43, v12, vcc
	v_add_co_u32_e32 v46, vcc, s0, v44
	ds_read_b128 v[22:25], v107 offset:160
	ds_read_b128 v[26:29], v107 offset:416
	;; [unrolled: 1-line block ×5, first 2 shown]
	v_addc_co_u32_e32 v47, vcc, v45, v12, vcc
	v_add_co_u32_e32 v48, vcc, s0, v46
	v_addc_co_u32_e32 v49, vcc, v47, v12, vcc
	v_add_co_u32_e32 v50, vcc, s0, v48
	v_addc_co_u32_e32 v51, vcc, v49, v12, vcc
	s_waitcnt vmcnt(4) lgkmcnt(4)
	v_mul_f64 v[12:13], v[24:25], v[2:3]
	v_mul_f64 v[2:3], v[22:23], v[2:3]
	s_waitcnt vmcnt(3) lgkmcnt(3)
	v_mul_f64 v[52:53], v[28:29], v[6:7]
	v_mul_f64 v[6:7], v[26:27], v[6:7]
	;; [unrolled: 3-line block ×5, first 2 shown]
	v_fmac_f64_e32 v[12:13], v[22:23], v[0:1]
	v_fma_f64 v[2:3], v[0:1], v[24:25], -v[2:3]
	v_fmac_f64_e32 v[52:53], v[26:27], v[4:5]
	v_fma_f64 v[6:7], v[4:5], v[28:29], -v[6:7]
	v_fmac_f64_e32 v[54:55], v[30:31], v[8:9]
	v_fma_f64 v[10:11], v[8:9], v[32:33], -v[10:11]
	v_fmac_f64_e32 v[56:57], v[34:35], v[14:15]
	v_fma_f64 v[14:15], v[14:15], v[36:37], -v[16:17]
	v_fmac_f64_e32 v[58:59], v[38:39], v[18:19]
	v_fma_f64 v[18:19], v[18:19], v[40:41], -v[20:21]
	v_mul_f64 v[0:1], v[12:13], s[2:3]
	v_mul_f64 v[2:3], v[2:3], s[2:3]
	;; [unrolled: 1-line block ×10, first 2 shown]
	global_store_dwordx4 v[42:43], v[0:3], off
	global_store_dwordx4 v[44:45], v[4:7], off
	;; [unrolled: 1-line block ×5, first 2 shown]
.LBB0_15:
	s_endpgm
	.section	.rodata,"a",@progbits
	.p2align	6, 0x0
	.amdhsa_kernel bluestein_single_fwd_len80_dim1_dp_op_CI_CI
		.amdhsa_group_segment_fixed_size 7680
		.amdhsa_private_segment_fixed_size 0
		.amdhsa_kernarg_size 104
		.amdhsa_user_sgpr_count 6
		.amdhsa_user_sgpr_private_segment_buffer 1
		.amdhsa_user_sgpr_dispatch_ptr 0
		.amdhsa_user_sgpr_queue_ptr 0
		.amdhsa_user_sgpr_kernarg_segment_ptr 1
		.amdhsa_user_sgpr_dispatch_id 0
		.amdhsa_user_sgpr_flat_scratch_init 0
		.amdhsa_user_sgpr_kernarg_preload_length 0
		.amdhsa_user_sgpr_kernarg_preload_offset 0
		.amdhsa_user_sgpr_private_segment_size 0
		.amdhsa_uses_dynamic_stack 0
		.amdhsa_system_sgpr_private_segment_wavefront_offset 0
		.amdhsa_system_sgpr_workgroup_id_x 1
		.amdhsa_system_sgpr_workgroup_id_y 0
		.amdhsa_system_sgpr_workgroup_id_z 0
		.amdhsa_system_sgpr_workgroup_info 0
		.amdhsa_system_vgpr_workitem_id 0
		.amdhsa_next_free_vgpr 154
		.amdhsa_next_free_sgpr 20
		.amdhsa_accum_offset 156
		.amdhsa_reserve_vcc 1
		.amdhsa_reserve_flat_scratch 0
		.amdhsa_float_round_mode_32 0
		.amdhsa_float_round_mode_16_64 0
		.amdhsa_float_denorm_mode_32 3
		.amdhsa_float_denorm_mode_16_64 3
		.amdhsa_dx10_clamp 1
		.amdhsa_ieee_mode 1
		.amdhsa_fp16_overflow 0
		.amdhsa_tg_split 0
		.amdhsa_exception_fp_ieee_invalid_op 0
		.amdhsa_exception_fp_denorm_src 0
		.amdhsa_exception_fp_ieee_div_zero 0
		.amdhsa_exception_fp_ieee_overflow 0
		.amdhsa_exception_fp_ieee_underflow 0
		.amdhsa_exception_fp_ieee_inexact 0
		.amdhsa_exception_int_div_zero 0
	.end_amdhsa_kernel
	.text
.Lfunc_end0:
	.size	bluestein_single_fwd_len80_dim1_dp_op_CI_CI, .Lfunc_end0-bluestein_single_fwd_len80_dim1_dp_op_CI_CI
                                        ; -- End function
	.section	.AMDGPU.csdata,"",@progbits
; Kernel info:
; codeLenInByte = 7776
; NumSgprs: 24
; NumVgprs: 154
; NumAgprs: 0
; TotalNumVgprs: 154
; ScratchSize: 0
; MemoryBound: 0
; FloatMode: 240
; IeeeMode: 1
; LDSByteSize: 7680 bytes/workgroup (compile time only)
; SGPRBlocks: 2
; VGPRBlocks: 19
; NumSGPRsForWavesPerEU: 24
; NumVGPRsForWavesPerEU: 154
; AccumOffset: 156
; Occupancy: 2
; WaveLimiterHint : 1
; COMPUTE_PGM_RSRC2:SCRATCH_EN: 0
; COMPUTE_PGM_RSRC2:USER_SGPR: 6
; COMPUTE_PGM_RSRC2:TRAP_HANDLER: 0
; COMPUTE_PGM_RSRC2:TGID_X_EN: 1
; COMPUTE_PGM_RSRC2:TGID_Y_EN: 0
; COMPUTE_PGM_RSRC2:TGID_Z_EN: 0
; COMPUTE_PGM_RSRC2:TIDIG_COMP_CNT: 0
; COMPUTE_PGM_RSRC3_GFX90A:ACCUM_OFFSET: 38
; COMPUTE_PGM_RSRC3_GFX90A:TG_SPLIT: 0
	.text
	.p2alignl 6, 3212836864
	.fill 256, 4, 3212836864
	.type	__hip_cuid_ec4dabfee0704672,@object ; @__hip_cuid_ec4dabfee0704672
	.section	.bss,"aw",@nobits
	.globl	__hip_cuid_ec4dabfee0704672
__hip_cuid_ec4dabfee0704672:
	.byte	0                               ; 0x0
	.size	__hip_cuid_ec4dabfee0704672, 1

	.ident	"AMD clang version 19.0.0git (https://github.com/RadeonOpenCompute/llvm-project roc-6.4.0 25133 c7fe45cf4b819c5991fe208aaa96edf142730f1d)"
	.section	".note.GNU-stack","",@progbits
	.addrsig
	.addrsig_sym __hip_cuid_ec4dabfee0704672
	.amdgpu_metadata
---
amdhsa.kernels:
  - .agpr_count:     0
    .args:
      - .actual_access:  read_only
        .address_space:  global
        .offset:         0
        .size:           8
        .value_kind:     global_buffer
      - .actual_access:  read_only
        .address_space:  global
        .offset:         8
        .size:           8
        .value_kind:     global_buffer
      - .actual_access:  read_only
        .address_space:  global
        .offset:         16
        .size:           8
        .value_kind:     global_buffer
      - .actual_access:  read_only
        .address_space:  global
        .offset:         24
        .size:           8
        .value_kind:     global_buffer
      - .actual_access:  read_only
        .address_space:  global
        .offset:         32
        .size:           8
        .value_kind:     global_buffer
      - .offset:         40
        .size:           8
        .value_kind:     by_value
      - .address_space:  global
        .offset:         48
        .size:           8
        .value_kind:     global_buffer
      - .address_space:  global
        .offset:         56
        .size:           8
        .value_kind:     global_buffer
      - .address_space:  global
        .offset:         64
        .size:           8
        .value_kind:     global_buffer
      - .address_space:  global
        .offset:         72
        .size:           8
        .value_kind:     global_buffer
      - .offset:         80
        .size:           4
        .value_kind:     by_value
      - .address_space:  global
        .offset:         88
        .size:           8
        .value_kind:     global_buffer
      - .address_space:  global
        .offset:         96
        .size:           8
        .value_kind:     global_buffer
    .group_segment_fixed_size: 7680
    .kernarg_segment_align: 8
    .kernarg_segment_size: 104
    .language:       OpenCL C
    .language_version:
      - 2
      - 0
    .max_flat_workgroup_size: 60
    .name:           bluestein_single_fwd_len80_dim1_dp_op_CI_CI
    .private_segment_fixed_size: 0
    .sgpr_count:     24
    .sgpr_spill_count: 0
    .symbol:         bluestein_single_fwd_len80_dim1_dp_op_CI_CI.kd
    .uniform_work_group_size: 1
    .uses_dynamic_stack: false
    .vgpr_count:     154
    .vgpr_spill_count: 0
    .wavefront_size: 64
amdhsa.target:   amdgcn-amd-amdhsa--gfx90a
amdhsa.version:
  - 1
  - 2
...

	.end_amdgpu_metadata
